;; amdgpu-corpus repo=ROCm/rocFFT kind=compiled arch=gfx906 opt=O3
	.text
	.amdgcn_target "amdgcn-amd-amdhsa--gfx906"
	.amdhsa_code_object_version 6
	.protected	bluestein_single_back_len378_dim1_sp_op_CI_CI ; -- Begin function bluestein_single_back_len378_dim1_sp_op_CI_CI
	.globl	bluestein_single_back_len378_dim1_sp_op_CI_CI
	.p2align	8
	.type	bluestein_single_back_len378_dim1_sp_op_CI_CI,@function
bluestein_single_back_len378_dim1_sp_op_CI_CI: ; @bluestein_single_back_len378_dim1_sp_op_CI_CI
; %bb.0:
	s_load_dwordx4 s[0:3], s[4:5], 0x28
	v_mul_u32_u24_e32 v1, 0x209, v0
	v_add_u32_sdwa v32, s6, v1 dst_sel:DWORD dst_unused:UNUSED_PAD src0_sel:DWORD src1_sel:WORD_1
	v_mov_b32_e32 v33, 0
	s_waitcnt lgkmcnt(0)
	v_cmp_gt_u64_e32 vcc, s[0:1], v[32:33]
	s_and_saveexec_b64 s[0:1], vcc
	s_cbranch_execz .LBB0_23
; %bb.1:
	s_load_dwordx2 s[14:15], s[4:5], 0x0
	s_load_dwordx2 s[12:13], s[4:5], 0x38
	s_movk_i32 s0, 0x7e
	v_mul_lo_u16_sdwa v1, v1, s0 dst_sel:DWORD dst_unused:UNUSED_PAD src0_sel:WORD_1 src1_sel:DWORD
	v_sub_u16_e32 v35, v0, v1
	v_cmp_gt_u16_e32 vcc, 63, v35
	v_lshlrev_b32_e32 v36, 3, v35
	s_and_saveexec_b64 s[6:7], vcc
	s_cbranch_execz .LBB0_3
; %bb.2:
	s_load_dwordx2 s[0:1], s[4:5], 0x18
	s_waitcnt lgkmcnt(0)
	s_load_dwordx4 s[8:11], s[0:1], 0x0
	s_waitcnt lgkmcnt(0)
	v_mad_u64_u32 v[0:1], s[0:1], s10, v32, 0
	v_mad_u64_u32 v[2:3], s[0:1], s8, v35, 0
	;; [unrolled: 1-line block ×4, first 2 shown]
	v_mov_b32_e32 v1, v4
	v_lshlrev_b64 v[0:1], 3, v[0:1]
	v_mov_b32_e32 v3, v5
	v_mov_b32_e32 v6, s3
	v_lshlrev_b64 v[2:3], 3, v[2:3]
	v_add_co_u32_e64 v0, s[0:1], s2, v0
	v_addc_co_u32_e64 v1, s[0:1], v6, v1, s[0:1]
	v_add_co_u32_e64 v0, s[0:1], v0, v2
	v_addc_co_u32_e64 v1, s[0:1], v1, v3, s[0:1]
	s_mul_i32 s0, s9, 0x1f8
	s_mul_hi_u32 s1, s8, 0x1f8
	s_mul_i32 s2, s8, 0x1f8
	s_add_i32 s0, s1, s0
	global_load_dwordx2 v[2:3], v[0:1], off
	global_load_dwordx2 v[4:5], v36, s[14:15]
	global_load_dwordx2 v[6:7], v36, s[14:15] offset:504
	global_load_dwordx2 v[8:9], v36, s[14:15] offset:1008
	;; [unrolled: 1-line block ×3, first 2 shown]
	v_mov_b32_e32 v12, s0
	v_mov_b32_e32 v13, s0
	;; [unrolled: 1-line block ×5, first 2 shown]
	v_add_co_u32_e64 v0, s[0:1], s2, v0
	v_addc_co_u32_e64 v1, s[0:1], v1, v12, s[0:1]
	v_add_co_u32_e64 v12, s[0:1], s2, v0
	v_addc_co_u32_e64 v13, s[0:1], v1, v13, s[0:1]
	global_load_dwordx2 v[14:15], v[0:1], off
	global_load_dwordx2 v[16:17], v[12:13], off
	v_add_co_u32_e64 v0, s[0:1], s2, v12
	v_addc_co_u32_e64 v1, s[0:1], v13, v18, s[0:1]
	global_load_dwordx2 v[12:13], v[0:1], off
	v_add_co_u32_e64 v0, s[0:1], s2, v0
	v_addc_co_u32_e64 v1, s[0:1], v1, v19, s[0:1]
	global_load_dwordx2 v[18:19], v[0:1], off
	global_load_dwordx2 v[20:21], v36, s[14:15] offset:2016
	v_add_co_u32_e64 v0, s[0:1], s2, v0
	v_addc_co_u32_e64 v1, s[0:1], v1, v22, s[0:1]
	global_load_dwordx2 v[22:23], v36, s[14:15] offset:2520
	global_load_dwordx2 v[24:25], v[0:1], off
	s_waitcnt vmcnt(10)
	v_mul_f32_e32 v1, v2, v5
	v_mul_f32_e32 v0, v3, v5
	v_fma_f32 v1, v3, v4, -v1
	v_fmac_f32_e32 v0, v2, v4
	s_waitcnt vmcnt(6)
	v_mul_f32_e32 v3, v14, v7
	v_mul_f32_e32 v2, v15, v7
	v_fma_f32 v3, v15, v6, -v3
	v_fmac_f32_e32 v2, v14, v6
	s_waitcnt vmcnt(5)
	v_mul_f32_e32 v4, v17, v9
	v_mul_f32_e32 v5, v16, v9
	ds_write2_b64 v36, v[0:1], v[2:3] offset1:63
	s_waitcnt vmcnt(4)
	v_mul_f32_e32 v0, v13, v11
	v_mul_f32_e32 v1, v12, v11
	v_fmac_f32_e32 v4, v16, v8
	v_fma_f32 v5, v17, v8, -v5
	v_fmac_f32_e32 v0, v12, v10
	v_fma_f32 v1, v13, v10, -v1
	s_waitcnt vmcnt(2)
	v_mul_f32_e32 v2, v19, v21
	v_mul_f32_e32 v3, v18, v21
	ds_write2_b64 v36, v[4:5], v[0:1] offset0:126 offset1:189
	s_waitcnt vmcnt(0)
	v_mul_f32_e32 v0, v25, v23
	v_mul_f32_e32 v1, v24, v23
	v_fmac_f32_e32 v2, v18, v20
	v_fma_f32 v3, v19, v20, -v3
	v_fmac_f32_e32 v0, v24, v22
	v_fma_f32 v1, v25, v22, -v1
	v_add_u32_e32 v4, 0x400, v36
	ds_write2_b64 v4, v[2:3], v[0:1] offset0:124 offset1:187
.LBB0_3:
	s_or_b64 exec, exec, s[6:7]
	s_load_dwordx2 s[0:1], s[4:5], 0x20
	s_load_dwordx2 s[2:3], s[4:5], 0x8
	s_waitcnt lgkmcnt(0)
	s_barrier
	s_waitcnt lgkmcnt(0)
                                        ; implicit-def: $vgpr6
                                        ; implicit-def: $vgpr10
                                        ; implicit-def: $vgpr2
	s_and_saveexec_b64 s[4:5], vcc
	s_cbranch_execz .LBB0_5
; %bb.4:
	v_add_u32_e32 v8, 0x400, v36
	ds_read2_b64 v[0:3], v36 offset1:63
	ds_read2_b64 v[4:7], v36 offset0:126 offset1:189
	ds_read2_b64 v[8:11], v8 offset0:124 offset1:187
.LBB0_5:
	s_or_b64 exec, exec, s[4:5]
	s_waitcnt lgkmcnt(0)
	v_add_f32_e32 v13, v8, v4
	v_add_f32_e32 v12, v4, v0
	v_fmac_f32_e32 v0, -0.5, v13
	v_sub_f32_e32 v14, v5, v9
	v_mov_b32_e32 v13, v0
	v_fmac_f32_e32 v13, 0x3f5db3d7, v14
	v_fmac_f32_e32 v0, 0xbf5db3d7, v14
	v_add_f32_e32 v14, v5, v1
	v_add_f32_e32 v5, v9, v5
	v_fmac_f32_e32 v1, -0.5, v5
	v_add_f32_e32 v12, v8, v12
	v_sub_f32_e32 v5, v4, v8
	v_mov_b32_e32 v4, v1
	v_add_f32_e32 v8, v6, v10
	v_fmac_f32_e32 v4, 0xbf5db3d7, v5
	v_fmac_f32_e32 v1, 0x3f5db3d7, v5
	v_add_f32_e32 v5, v6, v2
	v_fmac_f32_e32 v2, -0.5, v8
	v_add_f32_e32 v14, v9, v14
	v_sub_f32_e32 v8, v7, v11
	v_mov_b32_e32 v9, v2
	v_fmac_f32_e32 v9, 0x3f5db3d7, v8
	v_fmac_f32_e32 v2, 0xbf5db3d7, v8
	v_add_f32_e32 v8, v7, v3
	v_add_f32_e32 v7, v7, v11
	v_fmac_f32_e32 v3, -0.5, v7
	v_add_f32_e32 v5, v10, v5
	v_sub_f32_e32 v6, v6, v10
	v_mov_b32_e32 v10, v3
	v_fmac_f32_e32 v10, 0xbf5db3d7, v6
	v_fmac_f32_e32 v3, 0x3f5db3d7, v6
	v_mul_f32_e32 v6, 0x3f5db3d7, v10
	v_mul_f32_e32 v7, -0.5, v2
	v_fmac_f32_e32 v6, 0.5, v9
	v_fmac_f32_e32 v7, 0x3f5db3d7, v3
	v_mul_f32_e32 v9, 0xbf5db3d7, v9
	v_mul_f32_e32 v3, -0.5, v3
	v_add_f32_e32 v8, v11, v8
	v_fmac_f32_e32 v9, 0.5, v10
	v_fmac_f32_e32 v3, 0xbf5db3d7, v2
	v_sub_f32_e32 v22, v12, v5
	v_sub_f32_e32 v24, v13, v6
	;; [unrolled: 1-line block ×6, first 2 shown]
	v_mul_lo_u16_e32 v37, 6, v35
	s_barrier
	s_and_saveexec_b64 s[4:5], vcc
	s_cbranch_execz .LBB0_7
; %bb.6:
	v_add_f32_e32 v21, v1, v3
	v_add_f32_e32 v3, v4, v9
	;; [unrolled: 1-line block ×6, first 2 shown]
	v_lshlrev_b32_e32 v4, 3, v37
	ds_write_b128 v4, v[0:3]
	ds_write_b128 v4, v[20:23] offset:16
	ds_write_b128 v4, v[24:27] offset:32
.LBB0_7:
	s_or_b64 exec, exec, s[4:5]
	s_load_dwordx4 s[4:7], s[0:1], 0x0
	s_movk_i32 s0, 0xab
	v_mul_lo_u16_sdwa v0, v35, s0 dst_sel:DWORD dst_unused:UNUSED_PAD src0_sel:BYTE_0 src1_sel:DWORD
	v_lshrrev_b16_e32 v10, 10, v0
	v_mul_lo_u16_e32 v0, 6, v10
	v_sub_u16_e32 v0, v35, v0
	v_and_b32_e32 v11, 0xff, v0
	v_lshlrev_b32_e32 v0, 4, v11
	s_waitcnt lgkmcnt(0)
	s_barrier
	global_load_dwordx4 v[0:3], v0, s[2:3]
	ds_read2_b64 v[4:7], v36 offset1:126
	ds_read_b64 v[8:9], v36 offset:2016
	v_mov_b32_e32 v12, 57
	v_mul_lo_u16_sdwa v12, v35, v12 dst_sel:DWORD dst_unused:UNUSED_PAD src0_sel:BYTE_0 src1_sel:DWORD
	v_mul_u32_u24_e32 v10, 18, v10
	v_lshrrev_b16_e32 v12, 10, v12
	v_add_lshl_u32 v38, v10, v11, 3
	v_mul_lo_u16_e32 v13, 18, v12
	v_sub_u16_e32 v13, v35, v13
	v_and_b32_e32 v13, 0xff, v13
	v_lshlrev_b32_e32 v10, 4, v13
	s_waitcnt vmcnt(0) lgkmcnt(0)
	s_barrier
	v_cmp_gt_u16_e64 s[0:1], 54, v35
                                        ; implicit-def: $vgpr33
	v_mul_f32_e32 v11, v7, v1
	v_mul_f32_e32 v14, v6, v1
	;; [unrolled: 1-line block ×4, first 2 shown]
	v_fma_f32 v6, v6, v0, -v11
	v_fmac_f32_e32 v14, v7, v0
	v_fma_f32 v7, v8, v2, -v15
	v_fmac_f32_e32 v16, v9, v2
	v_add_f32_e32 v9, v6, v7
	v_sub_f32_e32 v11, v14, v16
	v_add_f32_e32 v15, v5, v14
	v_add_f32_e32 v14, v14, v16
	;; [unrolled: 1-line block ×3, first 2 shown]
	v_sub_f32_e32 v17, v6, v7
	v_fma_f32 v4, -0.5, v9, v4
	v_fma_f32 v5, -0.5, v14, v5
	v_add_f32_e32 v6, v8, v7
	v_add_f32_e32 v7, v15, v16
	v_mov_b32_e32 v8, v4
	v_fmac_f32_e32 v4, 0xbf5db3d7, v11
	v_mov_b32_e32 v9, v5
	v_fmac_f32_e32 v5, 0x3f5db3d7, v17
	v_fmac_f32_e32 v8, 0x3f5db3d7, v11
	;; [unrolled: 1-line block ×3, first 2 shown]
	ds_write_b64 v38, v[4:5] offset:96
	ds_write2_b64 v38, v[6:7], v[8:9] offset1:6
	s_waitcnt lgkmcnt(0)
	s_barrier
	global_load_dwordx4 v[4:7], v10, s[2:3] offset:96
	v_mul_u32_u24_e32 v8, 54, v12
	v_add_lshl_u32 v39, v8, v13, 3
	ds_read2_b64 v[8:11], v36 offset1:126
	ds_read_b64 v[12:13], v36 offset:2016
	s_waitcnt vmcnt(0) lgkmcnt(0)
	s_barrier
	v_mul_f32_e32 v14, v11, v5
	v_mul_f32_e32 v15, v10, v5
	;; [unrolled: 1-line block ×4, first 2 shown]
	v_fma_f32 v10, v10, v4, -v14
	v_fmac_f32_e32 v15, v11, v4
	v_fma_f32 v11, v12, v6, -v16
	v_fmac_f32_e32 v17, v13, v6
	v_sub_f32_e32 v13, v15, v17
	v_add_f32_e32 v14, v9, v15
	v_add_f32_e32 v15, v15, v17
	;; [unrolled: 1-line block ×3, first 2 shown]
	v_fma_f32 v20, -0.5, v16, v8
	v_fma_f32 v21, -0.5, v15, v9
	v_add_f32_e32 v12, v8, v10
	v_sub_f32_e32 v10, v10, v11
	v_mov_b32_e32 v30, v20
	v_mov_b32_e32 v31, v21
	v_add_f32_e32 v29, v14, v17
	v_add_f32_e32 v28, v12, v11
	v_fmac_f32_e32 v20, 0xbf5db3d7, v13
	v_fmac_f32_e32 v21, 0x3f5db3d7, v10
	;; [unrolled: 1-line block ×4, first 2 shown]
	ds_write_b64 v39, v[20:21] offset:288
	ds_write2_b64 v39, v[28:29], v[30:31] offset1:18
	s_waitcnt lgkmcnt(0)
	s_barrier
	s_and_saveexec_b64 s[8:9], s[0:1]
	s_cbranch_execz .LBB0_9
; %bb.8:
	v_add_u32_e32 v8, 0x400, v36
	ds_read2_b64 v[28:31], v36 offset1:54
	ds_read2_b64 v[20:23], v36 offset0:108 offset1:162
	ds_read2_b64 v[24:27], v8 offset0:88 offset1:142
	ds_read_b64 v[33:34], v36 offset:2592
.LBB0_9:
	s_or_b64 exec, exec, s[8:9]
	v_mov_b32_e32 v8, 19
	v_mul_lo_u16_sdwa v8, v35, v8 dst_sel:DWORD dst_unused:UNUSED_PAD src0_sel:BYTE_0 src1_sel:DWORD
	v_lshrrev_b16_e32 v8, 10, v8
	v_mul_lo_u16_e32 v8, 54, v8
	v_sub_u16_e32 v8, v35, v8
	v_and_b32_e32 v8, 0xff, v8
	v_mad_u64_u32 v[40:41], s[2:3], v8, 48, s[2:3]
	s_mov_b32 s2, 0x3f5ff5aa
	s_mov_b32 s3, 0x3f3bfb3b
	global_load_dwordx4 v[8:11], v[40:41], off offset:384
	global_load_dwordx4 v[12:15], v[40:41], off offset:400
	;; [unrolled: 1-line block ×3, first 2 shown]
	s_mov_b32 s8, 0xbf3bfb3b
	s_mov_b32 s9, 0xbeae86e6
	s_waitcnt vmcnt(2) lgkmcnt(2)
	v_mul_f32_e32 v40, v21, v11
	v_mul_f32_e32 v41, v20, v11
	s_waitcnt vmcnt(1)
	v_mul_f32_e32 v42, v23, v13
	v_mul_f32_e32 v43, v22, v13
	s_waitcnt lgkmcnt(1)
	v_mul_f32_e32 v44, v25, v15
	v_mul_f32_e32 v45, v24, v15
	s_waitcnt vmcnt(0)
	v_mul_f32_e32 v46, v27, v17
	s_waitcnt lgkmcnt(0)
	v_mul_f32_e32 v48, v34, v19
	v_mul_f32_e32 v50, v31, v9
	;; [unrolled: 1-line block ×5, first 2 shown]
	v_fma_f32 v20, v20, v10, -v40
	v_fmac_f32_e32 v41, v21, v10
	v_fma_f32 v21, v22, v12, -v42
	v_fmac_f32_e32 v43, v23, v12
	;; [unrolled: 2-line block ×3, first 2 shown]
	v_fma_f32 v23, v26, v16, -v46
	v_fma_f32 v24, v33, v18, -v48
	v_fma_f32 v25, v30, v8, -v50
	v_fmac_f32_e32 v47, v27, v16
	v_fmac_f32_e32 v49, v34, v18
	;; [unrolled: 1-line block ×3, first 2 shown]
	v_add_f32_e32 v26, v25, v24
	v_add_f32_e32 v27, v20, v23
	;; [unrolled: 1-line block ×5, first 2 shown]
	v_sub_f32_e32 v25, v25, v24
	v_sub_f32_e32 v20, v20, v23
	;; [unrolled: 1-line block ×5, first 2 shown]
	v_add_f32_e32 v40, v27, v26
	v_add_f32_e32 v34, v43, v45
	v_sub_f32_e32 v24, v51, v49
	v_add_f32_e32 v41, v33, v31
	v_sub_f32_e32 v42, v27, v26
	v_sub_f32_e32 v43, v30, v27
	v_add_f32_e32 v27, v22, v20
	v_sub_f32_e32 v45, v22, v20
	;; [unrolled: 3-line block ×3, first 2 shown]
	v_add_f32_e32 v30, v30, v40
	v_sub_f32_e32 v44, v33, v31
	v_sub_f32_e32 v33, v34, v33
	;; [unrolled: 1-line block ×4, first 2 shown]
	v_add_f32_e32 v34, v34, v41
	v_add_f32_e32 v41, v20, v24
	;; [unrolled: 1-line block ×3, first 2 shown]
	v_sub_f32_e32 v23, v23, v24
	v_sub_f32_e32 v48, v24, v21
	v_mul_f32_e32 v47, 0xbf08b237, v47
	v_mul_f32_e32 v24, 0x3d64c772, v43
	v_add_f32_e32 v21, v29, v34
	v_mov_b32_e32 v50, v20
	v_add_f32_e32 v40, v27, v25
	v_mul_f32_e32 v45, 0xbf08b237, v45
	v_mul_f32_e32 v27, 0x3d64c772, v33
	;; [unrolled: 1-line block ×4, first 2 shown]
	v_fma_f32 v24, v42, s3, -v24
	v_fma_f32 v23, v23, s2, -v47
	v_mov_b32_e32 v51, v21
	v_fmac_f32_e32 v50, 0xbf955555, v30
	v_fma_f32 v27, v44, s3, -v27
	v_fma_f32 v29, v46, s2, -v45
	;; [unrolled: 1-line block ×4, first 2 shown]
	v_fmac_f32_e32 v23, 0x3ee1c552, v41
	v_fmac_f32_e32 v51, 0xbf955555, v34
	v_add_f32_e32 v24, v24, v50
	v_fmac_f32_e32 v29, 0x3ee1c552, v40
	v_fmac_f32_e32 v42, 0x3ee1c552, v41
	v_add_f32_e32 v30, v27, v51
	v_add_f32_e32 v34, v28, v50
	v_sub_f32_e32 v26, v24, v23
	v_add_f32_e32 v28, v23, v24
	v_sub_f32_e32 v22, v25, v22
	v_mul_f32_e32 v23, 0x3f4a47b2, v31
	v_mul_f32_e32 v25, 0x3f5ff5aa, v46
	v_add_f32_e32 v27, v29, v30
	v_sub_f32_e32 v29, v30, v29
	v_add_f32_e32 v24, v42, v34
	v_sub_f32_e32 v30, v34, v42
	v_fma_f32 v31, v44, s8, -v23
	v_fma_f32 v34, v22, s9, -v25
	v_add_f32_e32 v31, v31, v51
	v_fmac_f32_e32 v34, 0x3ee1c552, v40
	v_fmac_f32_e32 v49, 0x3d64c772, v43
	;; [unrolled: 1-line block ×5, first 2 shown]
	v_sub_f32_e32 v25, v31, v34
	v_add_f32_e32 v31, v34, v31
	v_add_f32_e32 v33, v49, v50
	;; [unrolled: 1-line block ×3, first 2 shown]
	v_fmac_f32_e32 v45, 0x3ee1c552, v40
	v_fmac_f32_e32 v47, 0x3ee1c552, v41
	v_add_f32_e32 v22, v47, v33
	v_sub_f32_e32 v23, v34, v45
	v_sub_f32_e32 v33, v33, v47
	v_add_f32_e32 v34, v45, v34
	s_and_saveexec_b64 s[2:3], s[0:1]
	s_cbranch_execz .LBB0_11
; %bb.10:
	v_add_u32_e32 v40, 0x400, v36
	ds_write2_b64 v36, v[20:21], v[22:23] offset1:54
	ds_write2_b64 v36, v[24:25], v[26:27] offset0:108 offset1:162
	ds_write2_b64 v40, v[28:29], v[30:31] offset0:88 offset1:142
	ds_write_b64 v36, v[33:34] offset:2592
.LBB0_11:
	s_or_b64 exec, exec, s[2:3]
	s_waitcnt lgkmcnt(0)
	s_barrier
	s_and_saveexec_b64 s[2:3], vcc
	s_cbranch_execz .LBB0_13
; %bb.12:
	ds_read_b64 v[40:41], v36
	global_load_dwordx2 v[42:43], v36, s[14:15] offset:3024
	s_add_u32 s8, s14, 0xbd0
	s_addc_u32 s9, s15, 0
	s_waitcnt vmcnt(0) lgkmcnt(0)
	v_mul_f32_e32 v44, v41, v43
	v_mul_f32_e32 v45, v40, v43
	v_fma_f32 v44, v40, v42, -v44
	v_fmac_f32_e32 v45, v41, v42
	ds_read_b64 v[40:41], v36 offset:504
	global_load_dwordx2 v[42:43], v36, s[8:9] offset:504
	ds_write_b64 v36, v[44:45]
	s_waitcnt vmcnt(0) lgkmcnt(1)
	v_mul_f32_e32 v44, v41, v43
	v_mul_f32_e32 v45, v40, v43
	v_fma_f32 v44, v40, v42, -v44
	v_fmac_f32_e32 v45, v41, v42
	ds_read_b64 v[40:41], v36 offset:1008
	global_load_dwordx2 v[42:43], v36, s[8:9] offset:1008
	ds_write_b64 v36, v[44:45] offset:504
	s_waitcnt vmcnt(0) lgkmcnt(1)
	v_mul_f32_e32 v44, v41, v43
	v_mul_f32_e32 v45, v40, v43
	v_fma_f32 v44, v40, v42, -v44
	v_fmac_f32_e32 v45, v41, v42
	ds_read_b64 v[40:41], v36 offset:1512
	global_load_dwordx2 v[42:43], v36, s[8:9] offset:1512
	ds_write_b64 v36, v[44:45] offset:1008
	;; [unrolled: 8-line block ×4, first 2 shown]
	s_waitcnt vmcnt(0) lgkmcnt(1)
	v_mul_f32_e32 v44, v41, v43
	v_mul_f32_e32 v45, v40, v43
	v_fma_f32 v44, v40, v42, -v44
	v_fmac_f32_e32 v45, v41, v42
	ds_write_b64 v36, v[44:45] offset:2520
.LBB0_13:
	s_or_b64 exec, exec, s[2:3]
	s_waitcnt lgkmcnt(0)
	s_barrier
	s_and_saveexec_b64 s[2:3], vcc
	s_cbranch_execz .LBB0_15
; %bb.14:
	v_add_u32_e32 v28, 0x400, v36
	ds_read2_b64 v[20:23], v36 offset1:63
	ds_read2_b64 v[24:27], v36 offset0:126 offset1:189
	ds_read2_b64 v[28:31], v28 offset0:124 offset1:187
.LBB0_15:
	s_or_b64 exec, exec, s[2:3]
	s_waitcnt lgkmcnt(0)
	v_add_f32_e32 v41, v28, v24
	v_add_f32_e32 v40, v24, v20
	v_fmac_f32_e32 v20, -0.5, v41
	v_sub_f32_e32 v42, v25, v29
	v_mov_b32_e32 v41, v20
	v_fmac_f32_e32 v41, 0xbf5db3d7, v42
	v_fmac_f32_e32 v20, 0x3f5db3d7, v42
	v_add_f32_e32 v42, v25, v21
	v_add_f32_e32 v25, v29, v25
	v_fmac_f32_e32 v21, -0.5, v25
	v_add_f32_e32 v40, v28, v40
	v_sub_f32_e32 v24, v24, v28
	v_mov_b32_e32 v28, v21
	v_fmac_f32_e32 v28, 0x3f5db3d7, v24
	v_fmac_f32_e32 v21, 0xbf5db3d7, v24
	v_add_f32_e32 v24, v26, v22
	v_add_f32_e32 v42, v29, v42
	;; [unrolled: 1-line block ×4, first 2 shown]
	v_fmac_f32_e32 v22, -0.5, v24
	v_sub_f32_e32 v24, v27, v31
	v_mov_b32_e32 v25, v22
	v_fmac_f32_e32 v25, 0xbf5db3d7, v24
	v_fmac_f32_e32 v22, 0x3f5db3d7, v24
	v_add_f32_e32 v24, v27, v23
	v_add_f32_e32 v43, v31, v24
	;; [unrolled: 1-line block ×3, first 2 shown]
	v_fmac_f32_e32 v23, -0.5, v24
	v_sub_f32_e32 v24, v26, v30
	v_mov_b32_e32 v26, v23
	v_fmac_f32_e32 v26, 0x3f5db3d7, v24
	v_fmac_f32_e32 v23, 0xbf5db3d7, v24
	v_mul_f32_e32 v30, 0xbf5db3d7, v26
	v_mul_f32_e32 v31, 0xbf5db3d7, v23
	v_mul_f32_e32 v44, 0.5, v26
	v_mul_f32_e32 v45, -0.5, v23
	v_fmac_f32_e32 v30, 0.5, v25
	v_fmac_f32_e32 v31, -0.5, v22
	v_fmac_f32_e32 v44, 0x3f5db3d7, v25
	v_fmac_f32_e32 v45, 0x3f5db3d7, v22
	v_sub_f32_e32 v22, v40, v29
	v_sub_f32_e32 v24, v41, v30
	;; [unrolled: 1-line block ×6, first 2 shown]
	s_barrier
	s_and_saveexec_b64 s[2:3], vcc
	s_cbranch_execz .LBB0_17
; %bb.16:
	v_add_f32_e32 v44, v28, v44
	v_add_f32_e32 v42, v43, v42
	;; [unrolled: 1-line block ×4, first 2 shown]
	v_lshlrev_b32_e32 v28, 3, v37
	v_add_f32_e32 v21, v21, v45
	v_add_f32_e32 v20, v20, v31
	ds_write_b128 v28, v[41:44]
	ds_write_b128 v28, v[20:23] offset:16
	ds_write_b128 v28, v[24:27] offset:32
.LBB0_17:
	s_or_b64 exec, exec, s[2:3]
	s_waitcnt lgkmcnt(0)
	s_barrier
	ds_read2_b64 v[28:31], v36 offset1:126
	ds_read_b64 v[20:21], v36 offset:2016
	s_waitcnt lgkmcnt(0)
	s_barrier
	v_mul_f32_e32 v37, v1, v31
	v_mul_f32_e32 v1, v1, v30
	v_fmac_f32_e32 v37, v0, v30
	v_fma_f32 v30, v0, v31, -v1
	v_mul_f32_e32 v31, v3, v21
	v_fmac_f32_e32 v31, v2, v20
	v_mul_f32_e32 v0, v3, v20
	v_add_f32_e32 v1, v37, v31
	v_fma_f32 v3, v2, v21, -v0
	v_fma_f32 v2, -0.5, v1, v28
	v_sub_f32_e32 v1, v30, v3
	v_mov_b32_e32 v20, v2
	v_fmac_f32_e32 v20, 0xbf5db3d7, v1
	v_fmac_f32_e32 v2, 0x3f5db3d7, v1
	v_add_f32_e32 v1, v29, v30
	v_add_f32_e32 v1, v1, v3
	;; [unrolled: 1-line block ×3, first 2 shown]
	v_fma_f32 v3, -0.5, v3, v29
	v_add_f32_e32 v0, v28, v37
	v_sub_f32_e32 v28, v37, v31
	v_mov_b32_e32 v21, v3
	v_add_f32_e32 v0, v0, v31
	v_fmac_f32_e32 v21, 0x3f5db3d7, v28
	v_fmac_f32_e32 v3, 0xbf5db3d7, v28
	ds_write2_b64 v38, v[0:1], v[20:21] offset1:6
	ds_write_b64 v38, v[2:3] offset:96
	s_waitcnt lgkmcnt(0)
	s_barrier
	ds_read2_b64 v[28:31], v36 offset1:126
	ds_read_b64 v[0:1], v36 offset:2016
	s_waitcnt lgkmcnt(0)
	s_barrier
	v_mul_f32_e32 v3, v5, v31
	v_mul_f32_e32 v2, v5, v30
	;; [unrolled: 1-line block ×3, first 2 shown]
	v_fmac_f32_e32 v3, v4, v30
	v_fmac_f32_e32 v5, v6, v0
	v_mul_f32_e32 v0, v7, v0
	v_fma_f32 v6, v6, v1, -v0
	v_add_f32_e32 v1, v3, v5
	v_fma_f32 v4, v4, v31, -v2
	v_fma_f32 v20, -0.5, v1, v28
	v_sub_f32_e32 v1, v4, v6
	v_mov_b32_e32 v2, v20
	v_fmac_f32_e32 v2, 0xbf5db3d7, v1
	v_fmac_f32_e32 v20, 0x3f5db3d7, v1
	v_add_f32_e32 v1, v29, v4
	v_add_f32_e32 v4, v4, v6
	v_fma_f32 v21, -0.5, v4, v29
	v_add_f32_e32 v0, v28, v3
	v_sub_f32_e32 v4, v3, v5
	v_mov_b32_e32 v3, v21
	v_add_f32_e32 v0, v0, v5
	v_add_f32_e32 v1, v1, v6
	v_fmac_f32_e32 v3, 0x3f5db3d7, v4
	v_fmac_f32_e32 v21, 0xbf5db3d7, v4
	ds_write2_b64 v39, v[0:1], v[2:3] offset1:18
	ds_write_b64 v39, v[20:21] offset:288
	s_waitcnt lgkmcnt(0)
	s_barrier
	s_and_saveexec_b64 s[2:3], s[0:1]
	s_cbranch_execz .LBB0_19
; %bb.18:
	v_add_u32_e32 v4, 0x400, v36
	ds_read2_b64 v[0:3], v36 offset1:54
	ds_read2_b64 v[20:23], v36 offset0:108 offset1:162
	ds_read2_b64 v[24:27], v4 offset0:88 offset1:142
	ds_read_b64 v[33:34], v36 offset:2592
.LBB0_19:
	s_or_b64 exec, exec, s[2:3]
	s_and_saveexec_b64 s[2:3], s[0:1]
	s_cbranch_execz .LBB0_21
; %bb.20:
	s_waitcnt lgkmcnt(3)
	v_mul_f32_e32 v4, v9, v3
	s_waitcnt lgkmcnt(0)
	v_mul_f32_e32 v5, v19, v34
	v_mul_f32_e32 v7, v15, v25
	;; [unrolled: 1-line block ×3, first 2 shown]
	v_fmac_f32_e32 v4, v8, v2
	v_fmac_f32_e32 v5, v18, v33
	;; [unrolled: 1-line block ×4, first 2 shown]
	v_sub_f32_e32 v6, v4, v5
	v_mul_f32_e32 v31, v11, v21
	v_mul_f32_e32 v37, v17, v27
	v_add_f32_e32 v4, v5, v4
	v_add_f32_e32 v5, v28, v7
	v_sub_f32_e32 v29, v7, v28
	v_fmac_f32_e32 v31, v10, v20
	v_fmac_f32_e32 v37, v16, v26
	v_mul_f32_e32 v19, v19, v33
	v_mul_f32_e32 v2, v9, v2
	v_sub_f32_e32 v7, v4, v5
	v_fma_f32 v18, v18, v34, -v19
	v_fma_f32 v2, v8, v3, -v2
	v_mul_f32_e32 v3, v13, v22
	v_mul_f32_e32 v7, 0x3f4a47b2, v7
	v_add_f32_e32 v19, v37, v31
	v_fma_f32 v9, v12, v23, -v3
	v_mul_f32_e32 v3, v15, v24
	v_mul_f32_e32 v11, v11, v20
	v_sub_f32_e32 v20, v5, v19
	v_mov_b32_e32 v22, v7
	v_fma_f32 v12, v14, v25, -v3
	v_fma_f32 v10, v10, v21, -v11
	v_mul_f32_e32 v21, 0x3d64c772, v20
	v_fmac_f32_e32 v22, 0x3d64c772, v20
	v_add_f32_e32 v20, v19, v4
	v_add_f32_e32 v8, v18, v2
	v_add_f32_e32 v3, v9, v12
	v_mul_f32_e32 v14, v17, v26
	v_add_f32_e32 v5, v5, v20
	v_sub_f32_e32 v38, v31, v37
	v_sub_f32_e32 v13, v8, v3
	v_fma_f32 v14, v16, v27, -v14
	v_add_f32_e32 v0, v0, v5
	v_sub_f32_e32 v30, v6, v29
	v_sub_f32_e32 v39, v29, v38
	v_add_f32_e32 v29, v29, v38
	v_mul_f32_e32 v13, 0x3f4a47b2, v13
	v_add_f32_e32 v11, v14, v10
	v_mov_b32_e32 v20, v0
	v_sub_f32_e32 v18, v2, v18
	v_sub_f32_e32 v2, v12, v9
	;; [unrolled: 1-line block ×3, first 2 shown]
	v_add_f32_e32 v29, v29, v6
	v_sub_f32_e32 v15, v3, v11
	v_mov_b32_e32 v17, v13
	v_fmac_f32_e32 v20, 0xbf955555, v5
	v_sub_f32_e32 v5, v2, v10
	v_sub_f32_e32 v6, v38, v6
	v_mul_f32_e32 v16, 0x3d64c772, v15
	v_fmac_f32_e32 v17, 0x3d64c772, v15
	v_add_f32_e32 v15, v11, v8
	v_mul_f32_e32 v12, 0x3f08b237, v5
	v_mul_f32_e32 v5, 0xbf5ff5aa, v6
	s_mov_b32 s1, 0x3eae86e6
	v_sub_f32_e32 v8, v11, v8
	s_mov_b32 s8, 0xbf3bfb3b
	v_fma_f32 v24, v30, s1, -v5
	v_fma_f32 v5, v8, s8, -v13
	v_sub_f32_e32 v13, v19, v4
	v_add_f32_e32 v3, v3, v15
	v_sub_f32_e32 v9, v18, v2
	v_add_f32_e32 v2, v2, v10
	v_fma_f32 v4, v13, s8, -v7
	v_sub_f32_e32 v10, v10, v18
	v_mul_f32_e32 v39, 0x3f08b237, v39
	v_add_f32_e32 v1, v1, v3
	v_add_f32_e32 v19, v4, v20
	v_mul_f32_e32 v4, 0xbf5ff5aa, v10
	v_mov_b32_e32 v40, v39
	v_mov_b32_e32 v15, v1
	v_mov_b32_e32 v14, v12
	v_add_f32_e32 v23, v2, v18
	s_mov_b32 s0, 0xbf5ff5aa
	v_fma_f32 v18, v9, s1, -v4
	s_mov_b32 s1, 0x3f3bfb3b
	v_fmac_f32_e32 v40, 0xbeae86e6, v30
	v_fmac_f32_e32 v15, 0xbf955555, v3
	;; [unrolled: 1-line block ×3, first 2 shown]
	v_fma_f32 v7, v8, s1, -v16
	v_fma_f32 v9, v6, s0, -v39
	;; [unrolled: 1-line block ×4, first 2 shown]
	v_fmac_f32_e32 v40, 0xbee1c552, v29
	v_add_f32_e32 v17, v17, v15
	v_add_f32_e32 v22, v22, v20
	v_fmac_f32_e32 v14, 0xbee1c552, v23
	v_add_f32_e32 v8, v7, v15
	v_fmac_f32_e32 v9, 0xbee1c552, v29
	v_fmac_f32_e32 v10, 0xbee1c552, v23
	v_add_f32_e32 v12, v6, v20
	v_fmac_f32_e32 v24, 0xbee1c552, v29
	v_add_f32_e32 v11, v5, v15
	v_fmac_f32_e32 v18, 0xbee1c552, v23
	v_sub_f32_e32 v7, v8, v9
	v_add_f32_e32 v6, v10, v12
	v_add_f32_e32 v9, v9, v8
	v_sub_f32_e32 v8, v12, v10
	v_sub_f32_e32 v13, v17, v40
	v_add_f32_e32 v12, v14, v22
	v_add_f32_e32 v5, v24, v11
	v_sub_f32_e32 v4, v19, v18
	v_sub_f32_e32 v11, v11, v24
	v_add_f32_e32 v10, v18, v19
	ds_write2_b64 v36, v[0:1], v[12:13] offset1:54
	ds_write2_b64 v36, v[10:11], v[8:9] offset0:108 offset1:162
	v_add_u32_e32 v0, 0x400, v36
	v_add_f32_e32 v3, v40, v17
	v_sub_f32_e32 v2, v22, v14
	ds_write2_b64 v0, v[6:7], v[4:5] offset0:88 offset1:142
	ds_write_b64 v36, v[2:3] offset:2592
.LBB0_21:
	s_or_b64 exec, exec, s[2:3]
	s_waitcnt lgkmcnt(0)
	s_barrier
	s_and_b64 exec, exec, vcc
	s_cbranch_execz .LBB0_23
; %bb.22:
	global_load_dwordx2 v[8:9], v36, s[14:15]
	global_load_dwordx2 v[10:11], v36, s[14:15] offset:504
	global_load_dwordx2 v[12:13], v36, s[14:15] offset:1008
	;; [unrolled: 1-line block ×4, first 2 shown]
	ds_read2_b64 v[0:3], v36 offset1:126
	ds_read2_b64 v[4:7], v36 offset0:63 offset1:189
	ds_read_b64 v[22:23], v36 offset:2016
	ds_read_b64 v[24:25], v36 offset:2520
	global_load_dwordx2 v[26:27], v36, s[14:15] offset:2520
	v_mad_u64_u32 v[18:19], s[0:1], s6, v32, 0
	v_mad_u64_u32 v[20:21], s[2:3], s4, v35, 0
	s_mul_i32 s2, s5, 0x1f8
	s_mul_hi_u32 s3, s4, 0x1f8
	s_add_i32 s6, s3, s2
	v_mad_u64_u32 v[28:29], s[2:3], s7, v32, v[19:20]
	s_waitcnt lgkmcnt(1)
	v_mad_u64_u32 v[29:30], s[2:3], s5, v35, v[21:22]
	v_mov_b32_e32 v19, v28
	v_lshlrev_b64 v[18:19], 3, v[18:19]
	v_mov_b32_e32 v21, v29
	v_mov_b32_e32 v31, s13
	v_lshlrev_b64 v[20:21], 3, v[20:21]
	v_add_co_u32_e32 v18, vcc, s12, v18
	v_addc_co_u32_e32 v19, vcc, v31, v19, vcc
	v_add_co_u32_e32 v18, vcc, v18, v20
	s_mulk_i32 s4, 0x1f8
	v_addc_co_u32_e32 v19, vcc, v19, v21, vcc
	v_mov_b32_e32 v33, s6
	v_add_co_u32_e32 v20, vcc, s4, v18
	v_addc_co_u32_e32 v21, vcc, v19, v33, vcc
	v_mov_b32_e32 v30, s6
	v_add_co_u32_e32 v28, vcc, s4, v20
	v_addc_co_u32_e32 v29, vcc, v21, v30, vcc
	s_mov_b32 s0, 0x6b015ac0
	s_mov_b32 s1, 0x3f65ac05
	v_mov_b32_e32 v32, s6
	s_waitcnt vmcnt(5)
	v_mul_f32_e32 v30, v1, v9
	v_mul_f32_e32 v9, v0, v9
	s_waitcnt vmcnt(4)
	v_mul_f32_e32 v31, v5, v11
	v_mul_f32_e32 v11, v4, v11
	;; [unrolled: 3-line block ×3, first 2 shown]
	v_fmac_f32_e32 v30, v0, v8
	v_fma_f32 v8, v8, v1, -v9
	s_waitcnt vmcnt(2)
	v_mul_f32_e32 v34, v7, v15
	v_mul_f32_e32 v15, v6, v15
	v_fmac_f32_e32 v31, v4, v10
	v_fma_f32 v9, v10, v5, -v11
	v_fmac_f32_e32 v33, v2, v12
	v_fma_f32 v10, v12, v3, -v13
	v_cvt_f64_f32_e32 v[0:1], v30
	v_cvt_f64_f32_e32 v[2:3], v8
	v_fmac_f32_e32 v34, v6, v14
	v_fma_f32 v14, v14, v7, -v15
	v_cvt_f64_f32_e32 v[4:5], v31
	v_cvt_f64_f32_e32 v[6:7], v9
	;; [unrolled: 1-line block ×6, first 2 shown]
	v_mul_f64 v[0:1], v[0:1], s[0:1]
	v_mul_f64 v[2:3], v[2:3], s[0:1]
	;; [unrolled: 1-line block ×8, first 2 shown]
	s_waitcnt vmcnt(1)
	v_mul_f32_e32 v35, v23, v17
	v_mul_f32_e32 v17, v22, v17
	v_fmac_f32_e32 v35, v22, v16
	v_fma_f32 v22, v16, v23, -v17
	v_cvt_f64_f32_e32 v[16:17], v35
	v_cvt_f64_f32_e32 v[22:23], v22
	v_cvt_f32_f64_e32 v0, v[0:1]
	v_cvt_f32_f64_e32 v1, v[2:3]
	;; [unrolled: 1-line block ×8, first 2 shown]
	global_store_dwordx2 v[18:19], v[0:1], off
	global_store_dwordx2 v[20:21], v[2:3], off
	;; [unrolled: 1-line block ×3, first 2 shown]
	v_add_co_u32_e32 v0, vcc, s4, v28
	v_mul_f64 v[2:3], v[16:17], s[0:1]
	v_mul_f64 v[4:5], v[22:23], s[0:1]
	v_addc_co_u32_e32 v1, vcc, v29, v32, vcc
	global_store_dwordx2 v[0:1], v[6:7], off
	s_waitcnt vmcnt(4) lgkmcnt(0)
	v_mul_f32_e32 v6, v25, v27
	v_mul_f32_e32 v8, v24, v27
	v_fmac_f32_e32 v6, v24, v26
	v_fma_f32 v8, v26, v25, -v8
	v_cvt_f64_f32_e32 v[6:7], v6
	v_cvt_f64_f32_e32 v[8:9], v8
	v_cvt_f32_f64_e32 v2, v[2:3]
	v_cvt_f32_f64_e32 v3, v[4:5]
	v_mul_f64 v[4:5], v[6:7], s[0:1]
	v_mul_f64 v[6:7], v[8:9], s[0:1]
	v_mov_b32_e32 v8, s6
	v_add_co_u32_e32 v0, vcc, s4, v0
	v_addc_co_u32_e32 v1, vcc, v1, v8, vcc
	global_store_dwordx2 v[0:1], v[2:3], off
	v_cvt_f32_f64_e32 v2, v[4:5]
	v_cvt_f32_f64_e32 v3, v[6:7]
	v_mov_b32_e32 v4, s6
	v_add_co_u32_e32 v0, vcc, s4, v0
	v_addc_co_u32_e32 v1, vcc, v1, v4, vcc
	global_store_dwordx2 v[0:1], v[2:3], off
.LBB0_23:
	s_endpgm
	.section	.rodata,"a",@progbits
	.p2align	6, 0x0
	.amdhsa_kernel bluestein_single_back_len378_dim1_sp_op_CI_CI
		.amdhsa_group_segment_fixed_size 3024
		.amdhsa_private_segment_fixed_size 0
		.amdhsa_kernarg_size 104
		.amdhsa_user_sgpr_count 6
		.amdhsa_user_sgpr_private_segment_buffer 1
		.amdhsa_user_sgpr_dispatch_ptr 0
		.amdhsa_user_sgpr_queue_ptr 0
		.amdhsa_user_sgpr_kernarg_segment_ptr 1
		.amdhsa_user_sgpr_dispatch_id 0
		.amdhsa_user_sgpr_flat_scratch_init 0
		.amdhsa_user_sgpr_private_segment_size 0
		.amdhsa_uses_dynamic_stack 0
		.amdhsa_system_sgpr_private_segment_wavefront_offset 0
		.amdhsa_system_sgpr_workgroup_id_x 1
		.amdhsa_system_sgpr_workgroup_id_y 0
		.amdhsa_system_sgpr_workgroup_id_z 0
		.amdhsa_system_sgpr_workgroup_info 0
		.amdhsa_system_vgpr_workitem_id 0
		.amdhsa_next_free_vgpr 52
		.amdhsa_next_free_sgpr 16
		.amdhsa_reserve_vcc 1
		.amdhsa_reserve_flat_scratch 0
		.amdhsa_float_round_mode_32 0
		.amdhsa_float_round_mode_16_64 0
		.amdhsa_float_denorm_mode_32 3
		.amdhsa_float_denorm_mode_16_64 3
		.amdhsa_dx10_clamp 1
		.amdhsa_ieee_mode 1
		.amdhsa_fp16_overflow 0
		.amdhsa_exception_fp_ieee_invalid_op 0
		.amdhsa_exception_fp_denorm_src 0
		.amdhsa_exception_fp_ieee_div_zero 0
		.amdhsa_exception_fp_ieee_overflow 0
		.amdhsa_exception_fp_ieee_underflow 0
		.amdhsa_exception_fp_ieee_inexact 0
		.amdhsa_exception_int_div_zero 0
	.end_amdhsa_kernel
	.text
.Lfunc_end0:
	.size	bluestein_single_back_len378_dim1_sp_op_CI_CI, .Lfunc_end0-bluestein_single_back_len378_dim1_sp_op_CI_CI
                                        ; -- End function
	.section	.AMDGPU.csdata,"",@progbits
; Kernel info:
; codeLenInByte = 4680
; NumSgprs: 20
; NumVgprs: 52
; ScratchSize: 0
; MemoryBound: 0
; FloatMode: 240
; IeeeMode: 1
; LDSByteSize: 3024 bytes/workgroup (compile time only)
; SGPRBlocks: 2
; VGPRBlocks: 12
; NumSGPRsForWavesPerEU: 20
; NumVGPRsForWavesPerEU: 52
; Occupancy: 4
; WaveLimiterHint : 1
; COMPUTE_PGM_RSRC2:SCRATCH_EN: 0
; COMPUTE_PGM_RSRC2:USER_SGPR: 6
; COMPUTE_PGM_RSRC2:TRAP_HANDLER: 0
; COMPUTE_PGM_RSRC2:TGID_X_EN: 1
; COMPUTE_PGM_RSRC2:TGID_Y_EN: 0
; COMPUTE_PGM_RSRC2:TGID_Z_EN: 0
; COMPUTE_PGM_RSRC2:TIDIG_COMP_CNT: 0
	.type	__hip_cuid_c9513a6f7fe2829,@object ; @__hip_cuid_c9513a6f7fe2829
	.section	.bss,"aw",@nobits
	.globl	__hip_cuid_c9513a6f7fe2829
__hip_cuid_c9513a6f7fe2829:
	.byte	0                               ; 0x0
	.size	__hip_cuid_c9513a6f7fe2829, 1

	.ident	"AMD clang version 19.0.0git (https://github.com/RadeonOpenCompute/llvm-project roc-6.4.0 25133 c7fe45cf4b819c5991fe208aaa96edf142730f1d)"
	.section	".note.GNU-stack","",@progbits
	.addrsig
	.addrsig_sym __hip_cuid_c9513a6f7fe2829
	.amdgpu_metadata
---
amdhsa.kernels:
  - .args:
      - .actual_access:  read_only
        .address_space:  global
        .offset:         0
        .size:           8
        .value_kind:     global_buffer
      - .actual_access:  read_only
        .address_space:  global
        .offset:         8
        .size:           8
        .value_kind:     global_buffer
      - .actual_access:  read_only
        .address_space:  global
        .offset:         16
        .size:           8
        .value_kind:     global_buffer
      - .actual_access:  read_only
        .address_space:  global
        .offset:         24
        .size:           8
        .value_kind:     global_buffer
      - .actual_access:  read_only
        .address_space:  global
        .offset:         32
        .size:           8
        .value_kind:     global_buffer
      - .offset:         40
        .size:           8
        .value_kind:     by_value
      - .address_space:  global
        .offset:         48
        .size:           8
        .value_kind:     global_buffer
      - .address_space:  global
        .offset:         56
        .size:           8
        .value_kind:     global_buffer
      - .address_space:  global
        .offset:         64
        .size:           8
        .value_kind:     global_buffer
      - .address_space:  global
        .offset:         72
        .size:           8
        .value_kind:     global_buffer
      - .offset:         80
        .size:           4
        .value_kind:     by_value
      - .address_space:  global
        .offset:         88
        .size:           8
        .value_kind:     global_buffer
      - .address_space:  global
        .offset:         96
        .size:           8
        .value_kind:     global_buffer
    .group_segment_fixed_size: 3024
    .kernarg_segment_align: 8
    .kernarg_segment_size: 104
    .language:       OpenCL C
    .language_version:
      - 2
      - 0
    .max_flat_workgroup_size: 126
    .name:           bluestein_single_back_len378_dim1_sp_op_CI_CI
    .private_segment_fixed_size: 0
    .sgpr_count:     20
    .sgpr_spill_count: 0
    .symbol:         bluestein_single_back_len378_dim1_sp_op_CI_CI.kd
    .uniform_work_group_size: 1
    .uses_dynamic_stack: false
    .vgpr_count:     52
    .vgpr_spill_count: 0
    .wavefront_size: 64
amdhsa.target:   amdgcn-amd-amdhsa--gfx906
amdhsa.version:
  - 1
  - 2
...

	.end_amdgpu_metadata
